;; amdgpu-corpus repo=ROCm/rocFFT kind=compiled arch=gfx1030 opt=O3
	.text
	.amdgcn_target "amdgcn-amd-amdhsa--gfx1030"
	.amdhsa_code_object_version 6
	.protected	fft_rtc_fwd_len2187_factors_3_3_3_3_3_3_3_wgs_243_tpt_243_halfLds_half_op_CI_CI_sbrr_dirReg ; -- Begin function fft_rtc_fwd_len2187_factors_3_3_3_3_3_3_3_wgs_243_tpt_243_halfLds_half_op_CI_CI_sbrr_dirReg
	.globl	fft_rtc_fwd_len2187_factors_3_3_3_3_3_3_3_wgs_243_tpt_243_halfLds_half_op_CI_CI_sbrr_dirReg
	.p2align	8
	.type	fft_rtc_fwd_len2187_factors_3_3_3_3_3_3_3_wgs_243_tpt_243_halfLds_half_op_CI_CI_sbrr_dirReg,@function
fft_rtc_fwd_len2187_factors_3_3_3_3_3_3_3_wgs_243_tpt_243_halfLds_half_op_CI_CI_sbrr_dirReg: ; @fft_rtc_fwd_len2187_factors_3_3_3_3_3_3_3_wgs_243_tpt_243_halfLds_half_op_CI_CI_sbrr_dirReg
; %bb.0:
	s_clause 0x2
	s_load_dwordx4 s[16:19], s[4:5], 0x18
	s_load_dwordx4 s[12:15], s[4:5], 0x0
	;; [unrolled: 1-line block ×3, first 2 shown]
	v_mul_u32_u24_e32 v1, 0x10e, v0
	v_mov_b32_e32 v7, 0
	v_mov_b32_e32 v5, 0
	;; [unrolled: 1-line block ×3, first 2 shown]
	s_waitcnt lgkmcnt(0)
	s_load_dwordx2 s[20:21], s[16:17], 0x0
	s_load_dwordx2 s[2:3], s[18:19], 0x0
	v_cmp_lt_u64_e64 s0, s[14:15], 2
	v_add_nc_u32_sdwa v9, s6, v1 dst_sel:DWORD dst_unused:UNUSED_PAD src0_sel:DWORD src1_sel:WORD_1
	v_mov_b32_e32 v10, v7
	s_and_b32 vcc_lo, exec_lo, s0
	s_cbranch_vccnz .LBB0_8
; %bb.1:
	s_load_dwordx2 s[0:1], s[4:5], 0x10
	v_mov_b32_e32 v5, 0
	v_mov_b32_e32 v6, 0
	s_add_u32 s6, s18, 8
	s_addc_u32 s7, s19, 0
	v_mov_b32_e32 v1, v5
	s_add_u32 s22, s16, 8
	v_mov_b32_e32 v2, v6
	s_addc_u32 s23, s17, 0
	s_mov_b64 s[26:27], 1
	s_waitcnt lgkmcnt(0)
	s_add_u32 s24, s0, 8
	s_addc_u32 s25, s1, 0
.LBB0_2:                                ; =>This Inner Loop Header: Depth=1
	s_load_dwordx2 s[28:29], s[24:25], 0x0
                                        ; implicit-def: $vgpr3_vgpr4
	s_mov_b32 s0, exec_lo
	s_waitcnt lgkmcnt(0)
	v_or_b32_e32 v8, s29, v10
	v_cmpx_ne_u64_e32 0, v[7:8]
	s_xor_b32 s1, exec_lo, s0
	s_cbranch_execz .LBB0_4
; %bb.3:                                ;   in Loop: Header=BB0_2 Depth=1
	v_cvt_f32_u32_e32 v3, s28
	v_cvt_f32_u32_e32 v4, s29
	s_sub_u32 s0, 0, s28
	s_subb_u32 s30, 0, s29
	v_fmac_f32_e32 v3, 0x4f800000, v4
	v_rcp_f32_e32 v3, v3
	v_mul_f32_e32 v3, 0x5f7ffffc, v3
	v_mul_f32_e32 v4, 0x2f800000, v3
	v_trunc_f32_e32 v4, v4
	v_fmac_f32_e32 v3, 0xcf800000, v4
	v_cvt_u32_f32_e32 v4, v4
	v_cvt_u32_f32_e32 v3, v3
	v_mul_lo_u32 v8, s0, v4
	v_mul_hi_u32 v11, s0, v3
	v_mul_lo_u32 v12, s30, v3
	v_add_nc_u32_e32 v8, v11, v8
	v_mul_lo_u32 v11, s0, v3
	v_add_nc_u32_e32 v8, v8, v12
	v_mul_hi_u32 v12, v3, v11
	v_mul_lo_u32 v13, v3, v8
	v_mul_hi_u32 v14, v3, v8
	v_mul_hi_u32 v15, v4, v11
	v_mul_lo_u32 v11, v4, v11
	v_mul_hi_u32 v16, v4, v8
	v_mul_lo_u32 v8, v4, v8
	v_add_co_u32 v12, vcc_lo, v12, v13
	v_add_co_ci_u32_e32 v13, vcc_lo, 0, v14, vcc_lo
	v_add_co_u32 v11, vcc_lo, v12, v11
	v_add_co_ci_u32_e32 v11, vcc_lo, v13, v15, vcc_lo
	v_add_co_ci_u32_e32 v12, vcc_lo, 0, v16, vcc_lo
	v_add_co_u32 v8, vcc_lo, v11, v8
	v_add_co_ci_u32_e32 v11, vcc_lo, 0, v12, vcc_lo
	v_add_co_u32 v3, vcc_lo, v3, v8
	v_add_co_ci_u32_e32 v4, vcc_lo, v4, v11, vcc_lo
	v_mul_hi_u32 v8, s0, v3
	v_mul_lo_u32 v12, s30, v3
	v_mul_lo_u32 v11, s0, v4
	v_add_nc_u32_e32 v8, v8, v11
	v_mul_lo_u32 v11, s0, v3
	v_add_nc_u32_e32 v8, v8, v12
	v_mul_hi_u32 v12, v3, v11
	v_mul_lo_u32 v13, v3, v8
	v_mul_hi_u32 v14, v3, v8
	v_mul_hi_u32 v15, v4, v11
	v_mul_lo_u32 v11, v4, v11
	v_mul_hi_u32 v16, v4, v8
	v_mul_lo_u32 v8, v4, v8
	v_add_co_u32 v12, vcc_lo, v12, v13
	v_add_co_ci_u32_e32 v13, vcc_lo, 0, v14, vcc_lo
	v_add_co_u32 v11, vcc_lo, v12, v11
	v_add_co_ci_u32_e32 v11, vcc_lo, v13, v15, vcc_lo
	v_add_co_ci_u32_e32 v12, vcc_lo, 0, v16, vcc_lo
	v_add_co_u32 v8, vcc_lo, v11, v8
	v_add_co_ci_u32_e32 v11, vcc_lo, 0, v12, vcc_lo
	v_add_co_u32 v8, vcc_lo, v3, v8
	v_add_co_ci_u32_e32 v13, vcc_lo, v4, v11, vcc_lo
	v_mul_hi_u32 v15, v9, v8
	v_mad_u64_u32 v[11:12], null, v10, v8, 0
	v_mad_u64_u32 v[3:4], null, v9, v13, 0
	v_mad_u64_u32 v[13:14], null, v10, v13, 0
	v_add_co_u32 v3, vcc_lo, v15, v3
	v_add_co_ci_u32_e32 v4, vcc_lo, 0, v4, vcc_lo
	v_add_co_u32 v3, vcc_lo, v3, v11
	v_add_co_ci_u32_e32 v3, vcc_lo, v4, v12, vcc_lo
	v_add_co_ci_u32_e32 v4, vcc_lo, 0, v14, vcc_lo
	v_add_co_u32 v8, vcc_lo, v3, v13
	v_add_co_ci_u32_e32 v11, vcc_lo, 0, v4, vcc_lo
	v_mul_lo_u32 v12, s29, v8
	v_mad_u64_u32 v[3:4], null, s28, v8, 0
	v_mul_lo_u32 v13, s28, v11
	v_sub_co_u32 v3, vcc_lo, v9, v3
	v_add3_u32 v4, v4, v13, v12
	v_sub_nc_u32_e32 v12, v10, v4
	v_subrev_co_ci_u32_e64 v12, s0, s29, v12, vcc_lo
	v_add_co_u32 v13, s0, v8, 2
	v_add_co_ci_u32_e64 v14, s0, 0, v11, s0
	v_sub_co_u32 v15, s0, v3, s28
	v_sub_co_ci_u32_e32 v4, vcc_lo, v10, v4, vcc_lo
	v_subrev_co_ci_u32_e64 v12, s0, 0, v12, s0
	v_cmp_le_u32_e32 vcc_lo, s28, v15
	v_cmp_eq_u32_e64 s0, s29, v4
	v_cndmask_b32_e64 v15, 0, -1, vcc_lo
	v_cmp_le_u32_e32 vcc_lo, s29, v12
	v_cndmask_b32_e64 v16, 0, -1, vcc_lo
	v_cmp_le_u32_e32 vcc_lo, s28, v3
	;; [unrolled: 2-line block ×3, first 2 shown]
	v_cndmask_b32_e64 v17, 0, -1, vcc_lo
	v_cmp_eq_u32_e32 vcc_lo, s29, v12
	v_cndmask_b32_e64 v3, v17, v3, s0
	v_cndmask_b32_e32 v12, v16, v15, vcc_lo
	v_add_co_u32 v15, vcc_lo, v8, 1
	v_add_co_ci_u32_e32 v16, vcc_lo, 0, v11, vcc_lo
	v_cmp_ne_u32_e32 vcc_lo, 0, v12
	v_cndmask_b32_e32 v4, v16, v14, vcc_lo
	v_cndmask_b32_e32 v12, v15, v13, vcc_lo
	v_cmp_ne_u32_e32 vcc_lo, 0, v3
	v_cndmask_b32_e32 v4, v11, v4, vcc_lo
	v_cndmask_b32_e32 v3, v8, v12, vcc_lo
.LBB0_4:                                ;   in Loop: Header=BB0_2 Depth=1
	s_andn2_saveexec_b32 s0, s1
	s_cbranch_execz .LBB0_6
; %bb.5:                                ;   in Loop: Header=BB0_2 Depth=1
	v_cvt_f32_u32_e32 v3, s28
	s_sub_i32 s1, 0, s28
	v_rcp_iflag_f32_e32 v3, v3
	v_mul_f32_e32 v3, 0x4f7ffffe, v3
	v_cvt_u32_f32_e32 v3, v3
	v_mul_lo_u32 v4, s1, v3
	v_mul_hi_u32 v4, v3, v4
	v_add_nc_u32_e32 v3, v3, v4
	v_mul_hi_u32 v3, v9, v3
	v_mul_lo_u32 v4, v3, s28
	v_add_nc_u32_e32 v8, 1, v3
	v_sub_nc_u32_e32 v4, v9, v4
	v_subrev_nc_u32_e32 v11, s28, v4
	v_cmp_le_u32_e32 vcc_lo, s28, v4
	v_cndmask_b32_e32 v4, v4, v11, vcc_lo
	v_cndmask_b32_e32 v3, v3, v8, vcc_lo
	v_cmp_le_u32_e32 vcc_lo, s28, v4
	v_add_nc_u32_e32 v8, 1, v3
	v_mov_b32_e32 v4, v7
	v_cndmask_b32_e32 v3, v3, v8, vcc_lo
.LBB0_6:                                ;   in Loop: Header=BB0_2 Depth=1
	s_or_b32 exec_lo, exec_lo, s0
	v_mul_lo_u32 v8, v4, s28
	v_mul_lo_u32 v13, v3, s29
	s_load_dwordx2 s[0:1], s[22:23], 0x0
	v_mad_u64_u32 v[11:12], null, v3, s28, 0
	s_load_dwordx2 s[28:29], s[6:7], 0x0
	s_add_u32 s26, s26, 1
	s_addc_u32 s27, s27, 0
	s_add_u32 s6, s6, 8
	s_addc_u32 s7, s7, 0
	s_add_u32 s22, s22, 8
	v_add3_u32 v8, v12, v13, v8
	v_sub_co_u32 v9, vcc_lo, v9, v11
	s_addc_u32 s23, s23, 0
	s_add_u32 s24, s24, 8
	v_sub_co_ci_u32_e32 v8, vcc_lo, v10, v8, vcc_lo
	s_addc_u32 s25, s25, 0
	s_waitcnt lgkmcnt(0)
	v_mul_lo_u32 v10, s0, v8
	v_mul_lo_u32 v11, s1, v9
	v_mad_u64_u32 v[5:6], null, s0, v9, v[5:6]
	v_mul_lo_u32 v8, s28, v8
	v_mul_lo_u32 v12, s29, v9
	v_mad_u64_u32 v[1:2], null, s28, v9, v[1:2]
	v_cmp_ge_u64_e64 s0, s[26:27], s[14:15]
	v_add3_u32 v6, v11, v6, v10
	v_add3_u32 v2, v12, v2, v8
	s_and_b32 vcc_lo, exec_lo, s0
	s_cbranch_vccnz .LBB0_9
; %bb.7:                                ;   in Loop: Header=BB0_2 Depth=1
	v_mov_b32_e32 v10, v4
	v_mov_b32_e32 v9, v3
	s_branch .LBB0_2
.LBB0_8:
	v_mov_b32_e32 v1, v5
	v_mov_b32_e32 v3, v9
	;; [unrolled: 1-line block ×4, first 2 shown]
.LBB0_9:
	s_load_dwordx2 s[0:1], s[4:5], 0x28
	v_mul_hi_u32 v26, 0x10db20b, v0
	s_lshl_b64 s[6:7], s[14:15], 3
                                        ; implicit-def: $vgpr9
                                        ; implicit-def: $vgpr10
                                        ; implicit-def: $vgpr11
	s_add_u32 s4, s18, s6
	s_addc_u32 s5, s19, s7
	s_waitcnt lgkmcnt(0)
	v_cmp_gt_u64_e32 vcc_lo, s[0:1], v[3:4]
	v_cmp_le_u64_e64 s0, s[0:1], v[3:4]
	s_and_saveexec_b32 s1, s0
	s_xor_b32 s0, exec_lo, s1
; %bb.10:
	v_mul_u32_u24_e32 v5, 0xf3, v26
                                        ; implicit-def: $vgpr26
	v_sub_nc_u32_e32 v9, v0, v5
                                        ; implicit-def: $vgpr0
                                        ; implicit-def: $vgpr5_vgpr6
	v_add_nc_u32_e32 v10, 0xf3, v9
	v_add_nc_u32_e32 v11, 0x1e6, v9
; %bb.11:
	s_or_saveexec_b32 s1, s0
                                        ; implicit-def: $vgpr17
                                        ; implicit-def: $vgpr16
                                        ; implicit-def: $vgpr19
                                        ; implicit-def: $vgpr12
                                        ; implicit-def: $vgpr7
                                        ; implicit-def: $vgpr13
                                        ; implicit-def: $vgpr22
                                        ; implicit-def: $vgpr20
                                        ; implicit-def: $vgpr23
                                        ; implicit-def: $vgpr21
                                        ; implicit-def: $vgpr8
                                        ; implicit-def: $vgpr14
                                        ; implicit-def: $vgpr27
                                        ; implicit-def: $vgpr24
                                        ; implicit-def: $vgpr28
                                        ; implicit-def: $vgpr25
                                        ; implicit-def: $vgpr18
                                        ; implicit-def: $vgpr15
	s_xor_b32 exec_lo, exec_lo, s1
	s_cbranch_execz .LBB0_13
; %bb.12:
	s_add_u32 s6, s16, s6
	s_addc_u32 s7, s17, s7
	v_mul_u32_u24_e32 v7, 0xf3, v26
	s_load_dwordx2 s[6:7], s[6:7], 0x0
	v_lshlrev_b64 v[5:6], 2, v[5:6]
	v_sub_nc_u32_e32 v9, v0, v7
	v_add_nc_u32_e32 v21, 0x2d9, v9
	v_mad_u64_u32 v[7:8], null, s20, v9, 0
	v_add_nc_u32_e32 v22, 0x5b2, v9
	v_add_nc_u32_e32 v10, 0xf3, v9
	v_mad_u64_u32 v[11:12], null, s20, v21, 0
	v_add_nc_u32_e32 v24, 0x3cc, v9
	v_mad_u64_u32 v[13:14], null, s20, v22, 0
	v_mov_b32_e32 v0, v8
	s_waitcnt lgkmcnt(0)
	v_mul_lo_u32 v8, s7, v3
	v_mul_lo_u32 v23, s6, v4
	v_mad_u64_u32 v[17:18], null, s6, v3, 0
	v_mad_u64_u32 v[15:16], null, s20, v10, 0
	;; [unrolled: 1-line block ×3, first 2 shown]
	v_mov_b32_e32 v0, v12
	v_mov_b32_e32 v12, v14
	v_add3_u32 v18, v18, v23, v8
	v_add_nc_u32_e32 v23, 0x6a5, v9
	v_mov_b32_e32 v14, v16
	v_mad_u64_u32 v[20:21], null, s21, v21, v[0:1]
	v_lshlrev_b64 v[16:17], 2, v[17:18]
	v_mov_b32_e32 v8, v19
	v_mad_u64_u32 v[18:19], null, s21, v10, v[14:15]
	v_mad_u64_u32 v[21:22], null, s21, v22, v[12:13]
	v_mov_b32_e32 v12, v20
	v_mad_u64_u32 v[19:20], null, s20, v24, 0
	v_add_co_u32 v0, s0, s8, v16
	v_add_co_ci_u32_e64 v16, s0, s9, v17, s0
	v_mov_b32_e32 v14, v21
	v_add_co_u32 v33, s0, v0, v5
	v_mov_b32_e32 v0, v20
	v_add_co_ci_u32_e64 v34, s0, v16, v6, s0
	v_lshlrev_b64 v[5:6], 2, v[11:12]
	v_mov_b32_e32 v16, v18
	v_add_nc_u32_e32 v11, 0x1e6, v9
	v_mad_u64_u32 v[17:18], null, s20, v23, 0
	v_mad_u64_u32 v[20:21], null, s21, v24, v[0:1]
	;; [unrolled: 1-line block ×3, first 2 shown]
	v_lshlrev_b64 v[7:8], 2, v[7:8]
	v_lshlrev_b64 v[12:13], 2, v[13:14]
	v_mov_b32_e32 v0, v18
	v_lshlrev_b64 v[14:15], 2, v[15:16]
	v_add_nc_u32_e32 v16, 0x4bf, v9
	v_add_nc_u32_e32 v35, 0x798, v9
	v_add_co_u32 v7, s0, v33, v7
	v_mad_u64_u32 v[23:24], null, s21, v23, v[0:1]
	v_mov_b32_e32 v0, v22
	v_mad_u64_u32 v[24:25], null, s20, v16, 0
	v_add_co_ci_u32_e64 v8, s0, v34, v8, s0
	v_add_co_u32 v5, s0, v33, v5
	v_add_co_ci_u32_e64 v6, s0, v34, v6, s0
	v_mad_u64_u32 v[26:27], null, s21, v11, v[0:1]
	v_add_co_u32 v12, s0, v33, v12
	v_mad_u64_u32 v[27:28], null, s20, v35, 0
	v_add_co_ci_u32_e64 v13, s0, v34, v13, s0
	v_add_co_u32 v29, s0, v33, v14
	v_mov_b32_e32 v0, v25
	v_add_co_ci_u32_e64 v30, s0, v34, v15, s0
	v_lshlrev_b64 v[14:15], 2, v[19:20]
	v_mov_b32_e32 v18, v23
	v_mad_u64_u32 v[19:20], null, s21, v16, v[0:1]
	v_mov_b32_e32 v0, v28
	v_mov_b32_e32 v22, v26
	v_add_co_u32 v31, s0, v33, v14
	v_add_co_ci_u32_e64 v32, s0, v34, v15, s0
	v_lshlrev_b64 v[14:15], 2, v[17:18]
	v_mad_u64_u32 v[16:17], null, s21, v35, v[0:1]
	v_mov_b32_e32 v25, v19
	v_lshlrev_b64 v[17:18], 2, v[21:22]
	v_add_co_u32 v19, s0, v33, v14
	v_add_co_ci_u32_e64 v20, s0, v34, v15, s0
	v_mov_b32_e32 v28, v16
	v_lshlrev_b64 v[14:15], 2, v[24:25]
	v_add_co_u32 v16, s0, v33, v17
	v_add_co_ci_u32_e64 v17, s0, v34, v18, s0
	v_lshlrev_b64 v[21:22], 2, v[27:28]
	v_add_co_u32 v26, s0, v33, v14
	v_add_co_ci_u32_e64 v27, s0, v34, v15, s0
	v_add_co_u32 v33, s0, v33, v21
	v_add_co_ci_u32_e64 v34, s0, v34, v22, s0
	s_clause 0x8
	global_load_dword v15, v[7:8], off
	global_load_dword v25, v[5:6], off
	;; [unrolled: 1-line block ×9, first 2 shown]
	s_waitcnt vmcnt(8)
	v_lshrrev_b32_e32 v18, 16, v15
	s_waitcnt vmcnt(7)
	v_lshrrev_b32_e32 v28, 16, v25
	;; [unrolled: 2-line block ×9, first 2 shown]
.LBB0_13:
	s_or_b32 exec_lo, exec_lo, s1
	v_add_f16_e32 v0, v24, v25
	v_add_f16_e32 v26, v27, v28
	;; [unrolled: 1-line block ×3, first 2 shown]
	v_sub_f16_e32 v6, v28, v27
	v_sub_f16_e32 v25, v25, v24
	v_fmac_f16_e32 v15, -0.5, v0
	v_add_f16_e32 v0, v28, v18
	v_fmac_f16_e32 v18, -0.5, v26
	v_add_f16_e32 v5, v24, v5
	s_load_dwordx2 s[4:5], s[4:5], 0x0
	v_fmamk_f16 v24, v6, 0x3aee, v15
	v_add_f16_e32 v26, v27, v0
	v_add_f16_e32 v0, v20, v21
	v_fmac_f16_e32 v15, 0xbaee, v6
	v_fmamk_f16 v27, v25, 0xbaee, v18
	v_add_f16_e32 v6, v21, v14
	v_fmac_f16_e32 v18, 0x3aee, v25
	v_add_f16_e32 v25, v22, v23
	v_fmac_f16_e32 v14, -0.5, v0
	v_sub_f16_e32 v0, v23, v22
	v_add_f16_e32 v6, v20, v6
	v_add_f16_e32 v23, v23, v8
	v_fmac_f16_e32 v8, -0.5, v25
	v_sub_f16_e32 v20, v21, v20
	v_fmamk_f16 v21, v0, 0x3aee, v14
	v_fmac_f16_e32 v14, 0xbaee, v0
	v_add_f16_e32 v0, v16, v12
	v_add_f16_e32 v22, v22, v23
	v_fmamk_f16 v23, v20, 0xbaee, v8
	v_fmac_f16_e32 v8, 0x3aee, v20
	v_add_f16_e32 v20, v17, v19
	v_add_f16_e32 v25, v12, v13
	v_fmac_f16_e32 v13, -0.5, v0
	v_sub_f16_e32 v0, v19, v17
	v_add_f16_e32 v19, v19, v7
	v_fmac_f16_e32 v7, -0.5, v20
	v_sub_f16_e32 v12, v12, v16
	v_mad_u32_u24 v20, v9, 6, 0
	v_add_f16_e32 v25, v16, v25
	v_fmamk_f16 v16, v0, 0x3aee, v13
	v_fmac_f16_e32 v13, 0xbaee, v0
	v_mad_i32_i24 v0, v10, 6, 0
	v_fmamk_f16 v28, v12, 0xbaee, v7
	v_fmac_f16_e32 v7, 0x3aee, v12
	v_mad_i32_i24 v12, v11, 6, 0
	ds_write_b16 v20, v5
	ds_write_b16 v20, v24 offset:2
	ds_write_b16 v20, v15 offset:4
	ds_write_b16 v0, v6
	ds_write_b16 v0, v21 offset:2
	ds_write_b16 v0, v14 offset:4
	ds_write_b16 v12, v25
	ds_write_b16 v12, v16 offset:2
	v_lshlrev_b32_e32 v5, 2, v9
	v_and_b32_e32 v6, 0xff, v9
	v_lshlrev_b32_e32 v14, 2, v11
	v_lshlrev_b32_e32 v15, 2, v10
	ds_write_b16 v12, v13 offset:4
	v_sub_nc_u32_e32 v13, v20, v5
	v_mul_lo_u16 v5, 0xab, v6
	v_mov_b32_e32 v21, 0xaaab
	v_add_f16_e32 v19, v17, v19
	v_sub_nc_u32_e32 v17, v12, v14
	v_sub_nc_u32_e32 v16, v0, v15
	s_waitcnt lgkmcnt(0)
	s_barrier
	buffer_gl0_inv
	ds_read_u16 v24, v13
	ds_read_u16 v25, v13 offset:1458
	ds_read_u16 v29, v13 offset:1944
	ds_read_u16 v30, v17
	ds_read_u16 v31, v16
	ds_read_u16 v32, v13 offset:3888
	ds_read_u16 v33, v13 offset:3402
	;; [unrolled: 1-line block ×4, first 2 shown]
	s_waitcnt lgkmcnt(0)
	s_barrier
	buffer_gl0_inv
	ds_write_b16 v20, v26
	ds_write_b16 v20, v27 offset:2
	ds_write_b16 v20, v18 offset:4
	v_lshrrev_b16 v26, 9, v5
	v_mul_u32_u24_sdwa v5, v10, v21 dst_sel:DWORD dst_unused:UNUSED_PAD src0_sel:WORD_0 src1_sel:DWORD
	v_mul_u32_u24_sdwa v18, v11, v21 dst_sel:DWORD dst_unused:UNUSED_PAD src0_sel:WORD_0 src1_sel:DWORD
	ds_write_b16 v0, v22
	ds_write_b16 v0, v23 offset:2
	ds_write_b16 v0, v8 offset:4
	ds_write_b16 v12, v19
	ds_write_b16 v12, v28 offset:2
	v_mul_lo_u16 v8, v26, 3
	v_lshrrev_b32_e32 v27, 17, v5
	v_lshrrev_b32_e32 v28, 17, v18
	ds_write_b16 v12, v7 offset:4
	v_mov_b32_e32 v5, 3
	v_sub_nc_u16 v8, v9, v8
	v_mul_lo_u16 v18, v27, 3
	v_mul_lo_u16 v7, v28, 3
	s_waitcnt lgkmcnt(0)
	s_barrier
	buffer_gl0_inv
	v_sub_nc_u16 v36, v10, v18
	v_sub_nc_u16 v37, v11, v7
	v_lshlrev_b32_sdwa v18, v5, v8 dst_sel:DWORD dst_unused:UNUSED_PAD src0_sel:DWORD src1_sel:BYTE_0
	v_mov_b32_e32 v41, 18
	v_mul_u32_u24_e32 v27, 18, v27
	v_lshlrev_b32_sdwa v7, v5, v36 dst_sel:DWORD dst_unused:UNUSED_PAD src0_sel:DWORD src1_sel:WORD_0
	v_lshlrev_b32_sdwa v22, v5, v37 dst_sel:DWORD dst_unused:UNUSED_PAD src0_sel:DWORD src1_sel:WORD_0
	s_clause 0x2
	global_load_dwordx2 v[18:19], v18, s[12:13]
	global_load_dwordx2 v[20:21], v7, s[12:13]
	;; [unrolled: 1-line block ×3, first 2 shown]
	ds_read_u16 v42, v13
	ds_read_u16 v43, v13 offset:1458
	ds_read_u16 v44, v13 offset:1944
	ds_read_u16 v45, v17
	ds_read_u16 v46, v16
	ds_read_u16 v47, v13 offset:3888
	ds_read_u16 v48, v13 offset:3402
	;; [unrolled: 1-line block ×4, first 2 shown]
	v_mov_b32_e32 v7, 0xe38f
	v_mul_u32_u24_sdwa v26, v26, v41 dst_sel:DWORD dst_unused:UNUSED_PAD src0_sel:WORD_0 src1_sel:DWORD
	v_mul_u32_u24_e32 v28, 18, v28
	v_mul_lo_u16 v38, v6, 57
	s_waitcnt vmcnt(0) lgkmcnt(0)
	v_mul_u32_u24_sdwa v39, v10, v7 dst_sel:DWORD dst_unused:UNUSED_PAD src0_sel:WORD_0 src1_sel:DWORD
	v_mul_u32_u24_sdwa v40, v11, v7 dst_sel:DWORD dst_unused:UNUSED_PAD src0_sel:WORD_0 src1_sel:DWORD
	v_mov_b32_e32 v7, 1
	v_lshrrev_b16 v38, 9, v38
	s_barrier
	v_lshrrev_b32_e32 v39, 19, v39
	v_lshrrev_b32_e32 v40, 19, v40
	v_lshlrev_b32_sdwa v8, v7, v8 dst_sel:DWORD dst_unused:UNUSED_PAD src0_sel:DWORD src1_sel:BYTE_0
	v_lshlrev_b32_sdwa v36, v7, v36 dst_sel:DWORD dst_unused:UNUSED_PAD src0_sel:DWORD src1_sel:WORD_0
	v_lshlrev_b32_sdwa v37, v7, v37 dst_sel:DWORD dst_unused:UNUSED_PAD src0_sel:DWORD src1_sel:WORD_0
	v_mul_lo_u16 v41, v38, 9
	v_mul_lo_u16 v51, v39, 9
	v_add3_u32 v8, 0, v26, v8
	v_add3_u32 v26, 0, v27, v36
	;; [unrolled: 1-line block ×3, first 2 shown]
	v_mul_lo_u16 v52, v40, 9
	v_sub_nc_u16 v41, v9, v41
	v_sub_nc_u16 v51, v10, v51
	buffer_gl0_inv
	v_sub_nc_u16 v52, v11, v52
	v_lshlrev_b32_sdwa v53, v5, v41 dst_sel:DWORD dst_unused:UNUSED_PAD src0_sel:DWORD src1_sel:BYTE_0
	v_lshlrev_b32_sdwa v54, v5, v51 dst_sel:DWORD dst_unused:UNUSED_PAD src0_sel:DWORD src1_sel:WORD_0
	v_mul_f16_sdwa v28, v43, v18 dst_sel:DWORD dst_unused:UNUSED_PAD src0_sel:DWORD src1_sel:WORD_1
	v_mul_f16_sdwa v36, v25, v18 dst_sel:DWORD dst_unused:UNUSED_PAD src0_sel:DWORD src1_sel:WORD_1
	;; [unrolled: 1-line block ×12, first 2 shown]
	v_fma_f16 v25, v25, v18, -v28
	v_fmac_f16_e32 v36, v43, v18
	v_fma_f16 v18, v34, v19, -v37
	v_fmac_f16_e32 v55, v49, v19
	;; [unrolled: 2-line block ×6, first 2 shown]
	v_add_f16_e32 v28, v25, v18
	v_add_f16_e32 v33, v36, v55
	;; [unrolled: 1-line block ×8, first 2 shown]
	v_sub_f16_e32 v29, v36, v55
	v_sub_f16_e32 v25, v25, v18
	v_fmac_f16_e32 v24, -0.5, v28
	v_fmac_f16_e32 v42, -0.5, v33
	v_add_f16_e32 v34, v31, v19
	v_add_f16_e32 v37, v46, v57
	v_sub_f16_e32 v36, v57, v59
	v_sub_f16_e32 v19, v19, v20
	v_add_f16_e32 v44, v30, v21
	v_sub_f16_e32 v48, v61, v63
	v_fmac_f16_e32 v31, -0.5, v35
	v_fmac_f16_e32 v46, -0.5, v43
	;; [unrolled: 1-line block ×3, first 2 shown]
	v_add_f16_e32 v49, v45, v61
	v_sub_f16_e32 v21, v21, v22
	v_add_f16_e32 v18, v23, v18
	v_add_f16_e32 v23, v32, v55
	v_fmac_f16_e32 v45, -0.5, v50
	v_fmamk_f16 v33, v29, 0x3aee, v24
	v_fmac_f16_e32 v24, 0xbaee, v29
	v_fmamk_f16 v29, v25, 0xbaee, v42
	v_fmac_f16_e32 v42, 0x3aee, v25
	v_add_f16_e32 v20, v34, v20
	v_add_f16_e32 v28, v37, v59
	v_fmamk_f16 v25, v36, 0x3aee, v31
	v_fmac_f16_e32 v31, 0xbaee, v36
	v_fmamk_f16 v34, v19, 0xbaee, v46
	v_fmac_f16_e32 v46, 0x3aee, v19
	;; [unrolled: 2-line block ×3, first 2 shown]
	v_add_f16_e32 v22, v44, v22
	v_add_f16_e32 v32, v49, v63
	v_fmamk_f16 v35, v21, 0xbaee, v45
	v_fmac_f16_e32 v45, 0x3aee, v21
	ds_write_b16 v8, v18
	ds_write_b16 v8, v33 offset:6
	ds_write_b16 v8, v24 offset:12
	ds_write_b16 v26, v20
	ds_write_b16 v26, v25 offset:6
	ds_write_b16 v26, v31 offset:12
	;; [unrolled: 3-line block ×3, first 2 shown]
	s_waitcnt lgkmcnt(0)
	s_barrier
	buffer_gl0_inv
	ds_read_u16 v24, v13
	ds_read_u16 v25, v13 offset:1458
	ds_read_u16 v30, v13 offset:1944
	ds_read_u16 v31, v17
	ds_read_u16 v33, v16
	ds_read_u16 v36, v13 offset:3888
	ds_read_u16 v37, v13 offset:3402
	;; [unrolled: 1-line block ×4, first 2 shown]
	s_waitcnt lgkmcnt(0)
	s_barrier
	buffer_gl0_inv
	ds_write_b16 v8, v23
	ds_write_b16 v8, v29 offset:6
	ds_write_b16 v8, v42 offset:12
	ds_write_b16 v26, v28
	ds_write_b16 v26, v34 offset:6
	ds_write_b16 v26, v46 offset:12
	;; [unrolled: 3-line block ×3, first 2 shown]
	s_waitcnt lgkmcnt(0)
	s_barrier
	buffer_gl0_inv
	global_load_dwordx2 v[18:19], v53, s[12:13] offset:24
	v_lshlrev_b32_sdwa v8, v5, v52 dst_sel:DWORD dst_unused:UNUSED_PAD src0_sel:DWORD src1_sel:WORD_0
	s_clause 0x1
	global_load_dwordx2 v[20:21], v54, s[12:13] offset:24
	global_load_dwordx2 v[22:23], v8, s[12:13] offset:24
	v_mov_b32_e32 v8, 0x2f69
	v_mul_lo_u16 v27, v6, 19
	ds_read_u16 v45, v13 offset:2916
	v_mov_b32_e32 v28, 54
	v_mul_u32_u24_e32 v35, 54, v39
	v_mul_u32_u24_sdwa v26, v10, v8 dst_sel:DWORD dst_unused:UNUSED_PAD src0_sel:WORD_0 src1_sel:DWORD
	v_mul_u32_u24_sdwa v8, v11, v8 dst_sel:DWORD dst_unused:UNUSED_PAD src0_sel:WORD_0 src1_sel:DWORD
	v_lshrrev_b16 v27, 9, v27
	v_mul_u32_u24_sdwa v28, v38, v28 dst_sel:DWORD dst_unused:UNUSED_PAD src0_sel:WORD_0 src1_sel:DWORD
	v_mul_u32_u24_e32 v38, 54, v40
	v_lshrrev_b32_e32 v26, 16, v26
	v_lshrrev_b32_e32 v8, 16, v8
	v_mul_lo_u16 v34, v27, 27
	v_lshlrev_b32_sdwa v39, v7, v52 dst_sel:DWORD dst_unused:UNUSED_PAD src0_sel:DWORD src1_sel:WORD_0
	v_mul_lo_u16 v6, 0xcb, v6
	v_sub_nc_u16 v29, v10, v26
	v_sub_nc_u16 v32, v11, v8
	v_lshrrev_b16 v29, 1, v29
	v_lshrrev_b16 v32, 1, v32
	v_add_nc_u16 v26, v29, v26
	v_add_nc_u16 v8, v32, v8
	v_lshlrev_b32_sdwa v32, v7, v41 dst_sel:DWORD dst_unused:UNUSED_PAD src0_sel:DWORD src1_sel:BYTE_0
	ds_read_u16 v41, v13 offset:1458
	v_sub_nc_u16 v29, v9, v34
	v_lshlrev_b32_sdwa v34, v7, v51 dst_sel:DWORD dst_unused:UNUSED_PAD src0_sel:DWORD src1_sel:WORD_0
	ds_read_u16 v47, v13 offset:1944
	ds_read_u16 v48, v13 offset:3402
	;; [unrolled: 1-line block ×3, first 2 shown]
	ds_read_u16 v50, v16
	ds_read_u16 v51, v13 offset:2430
	v_lshrrev_b16 v8, 4, v8
	v_add3_u32 v28, 0, v28, v32
	v_lshrrev_b16 v26, 4, v26
	v_add3_u32 v32, 0, v35, v34
	v_add3_u32 v34, 0, v38, v39
	v_mul_lo_u16 v46, v8, 27
	v_lshlrev_b32_sdwa v40, v5, v29 dst_sel:DWORD dst_unused:UNUSED_PAD src0_sel:DWORD src1_sel:BYTE_0
	v_mul_lo_u16 v42, v26, 27
	v_lshlrev_b32_sdwa v29, v7, v29 dst_sel:DWORD dst_unused:UNUSED_PAD src0_sel:DWORD src1_sel:BYTE_0
	v_sub_nc_u16 v35, v11, v46
	ds_read_u16 v39, v13
	ds_read_u16 v46, v17
	v_sub_nc_u16 v42, v10, v42
	s_waitcnt vmcnt(0) lgkmcnt(0)
	s_barrier
	buffer_gl0_inv
	v_lshlrev_b32_sdwa v38, v5, v42 dst_sel:DWORD dst_unused:UNUSED_PAD src0_sel:DWORD src1_sel:WORD_0
	v_mul_f16_sdwa v52, v41, v18 dst_sel:DWORD dst_unused:UNUSED_PAD src0_sel:DWORD src1_sel:WORD_1
	v_mul_f16_sdwa v53, v25, v18 dst_sel:DWORD dst_unused:UNUSED_PAD src0_sel:DWORD src1_sel:WORD_1
	;; [unrolled: 1-line block ×12, first 2 shown]
	v_fma_f16 v25, v25, v18, -v52
	v_fmac_f16_e32 v53, v41, v18
	v_fma_f16 v18, v43, v19, -v54
	v_fmac_f16_e32 v55, v45, v19
	;; [unrolled: 2-line block ×6, first 2 shown]
	v_add_f16_e32 v30, v25, v18
	v_add_f16_e32 v41, v53, v55
	;; [unrolled: 1-line block ×6, first 2 shown]
	v_sub_f16_e32 v36, v53, v55
	v_add_f16_e32 v37, v39, v53
	v_add_f16_e32 v54, v61, v63
	v_fmac_f16_e32 v24, -0.5, v30
	v_sub_f16_e32 v25, v25, v18
	v_fmac_f16_e32 v39, -0.5, v41
	v_add_f16_e32 v43, v33, v19
	v_sub_f16_e32 v45, v57, v59
	v_add_f16_e32 v47, v50, v57
	v_add_f16_e32 v49, v31, v21
	v_fmac_f16_e32 v33, -0.5, v44
	v_sub_f16_e32 v19, v19, v20
	v_sub_f16_e32 v52, v61, v63
	v_add_f16_e32 v18, v23, v18
	v_fmac_f16_e32 v50, -0.5, v48
	v_fmac_f16_e32 v31, -0.5, v51
	v_add_f16_e32 v53, v46, v61
	v_sub_f16_e32 v21, v21, v22
	v_add_f16_e32 v23, v37, v55
	v_fmac_f16_e32 v46, -0.5, v54
	v_fmamk_f16 v41, v36, 0x3aee, v24
	v_fmac_f16_e32 v24, 0xbaee, v36
	v_fmamk_f16 v36, v25, 0xbaee, v39
	v_add_f16_e32 v20, v43, v20
	v_fmac_f16_e32 v39, 0x3aee, v25
	v_add_f16_e32 v30, v47, v59
	v_add_f16_e32 v22, v49, v22
	v_fmamk_f16 v25, v45, 0x3aee, v33
	v_fmac_f16_e32 v33, 0xbaee, v45
	v_fmamk_f16 v43, v19, 0xbaee, v50
	v_fmac_f16_e32 v50, 0x3aee, v19
	;; [unrolled: 2-line block ×3, first 2 shown]
	ds_write_b16 v28, v18
	ds_write_b16 v28, v41 offset:18
	ds_write_b16 v28, v24 offset:36
	ds_write_b16 v32, v20
	ds_write_b16 v32, v25 offset:18
	ds_write_b16 v32, v33 offset:36
	;; [unrolled: 3-line block ×3, first 2 shown]
	v_lshlrev_b32_sdwa v22, v5, v35 dst_sel:DWORD dst_unused:UNUSED_PAD src0_sel:DWORD src1_sel:WORD_0
	v_add_f16_e32 v37, v53, v63
	v_fmamk_f16 v44, v21, 0xbaee, v46
	v_fmac_f16_e32 v46, 0x3aee, v21
	s_waitcnt lgkmcnt(0)
	s_barrier
	buffer_gl0_inv
	ds_read_u16 v24, v13
	ds_read_u16 v25, v13 offset:1458
	ds_read_u16 v31, v13 offset:1944
	ds_read_u16 v33, v17
	ds_read_u16 v41, v16
	ds_read_u16 v45, v13 offset:3888
	ds_read_u16 v47, v13 offset:3402
	;; [unrolled: 1-line block ×4, first 2 shown]
	s_waitcnt lgkmcnt(0)
	s_barrier
	buffer_gl0_inv
	ds_write_b16 v28, v23
	ds_write_b16 v28, v36 offset:18
	ds_write_b16 v28, v39 offset:36
	ds_write_b16 v32, v30
	ds_write_b16 v32, v43 offset:18
	ds_write_b16 v32, v50 offset:36
	;; [unrolled: 3-line block ×3, first 2 shown]
	s_waitcnt lgkmcnt(0)
	s_barrier
	buffer_gl0_inv
	s_clause 0x2
	global_load_dwordx2 v[18:19], v40, s[12:13] offset:96
	global_load_dwordx2 v[20:21], v38, s[12:13] offset:96
	;; [unrolled: 1-line block ×3, first 2 shown]
	v_lshrrev_b16 v32, 14, v6
	v_mov_b32_e32 v6, 0xa2
	ds_read_u16 v38, v13 offset:1458
	v_lshlrev_b32_sdwa v39, v7, v42 dst_sel:DWORD dst_unused:UNUSED_PAD src0_sel:DWORD src1_sel:WORD_0
	v_lshlrev_b32_sdwa v35, v7, v35 dst_sel:DWORD dst_unused:UNUSED_PAD src0_sel:DWORD src1_sel:WORD_0
	v_mov_b32_e32 v28, 0x6523
	v_mul_u32_u24_sdwa v27, v27, v6 dst_sel:DWORD dst_unused:UNUSED_PAD src0_sel:WORD_0 src1_sel:DWORD
	v_mul_u32_u24_sdwa v26, v26, v6 dst_sel:DWORD dst_unused:UNUSED_PAD src0_sel:WORD_0 src1_sel:DWORD
	;; [unrolled: 1-line block ×3, first 2 shown]
	ds_read_u16 v8, v13 offset:2916
	ds_read_u16 v40, v13 offset:1944
	ds_read_u16 v42, v13 offset:3402
	ds_read_u16 v43, v13 offset:3888
	ds_read_u16 v44, v16
	ds_read_u16 v46, v13 offset:2430
	v_add3_u32 v27, 0, v27, v29
	v_add3_u32 v26, 0, v26, v39
	;; [unrolled: 1-line block ×3, first 2 shown]
	ds_read_u16 v29, v13
	ds_read_u16 v35, v17
	v_mul_u32_u24_sdwa v30, v10, v28 dst_sel:DWORD dst_unused:UNUSED_PAD src0_sel:WORD_0 src1_sel:DWORD
	v_mul_u32_u24_sdwa v28, v11, v28 dst_sel:DWORD dst_unused:UNUSED_PAD src0_sel:WORD_0 src1_sel:DWORD
	v_mul_lo_u16 v34, 0x51, v32
	s_waitcnt vmcnt(0) lgkmcnt(0)
	s_barrier
	v_lshrrev_b32_e32 v30, 21, v30
	v_lshrrev_b32_e32 v28, 21, v28
	v_sub_nc_u16 v34, v9, v34
	buffer_gl0_inv
	v_mul_lo_u16 v36, 0x51, v30
	v_mul_lo_u16 v37, 0x51, v28
	v_lshlrev_b32_sdwa v50, v5, v34 dst_sel:DWORD dst_unused:UNUSED_PAD src0_sel:DWORD src1_sel:BYTE_0
	v_sub_nc_u16 v36, v10, v36
	v_sub_nc_u16 v37, v11, v37
	v_lshlrev_b32_sdwa v51, v5, v36 dst_sel:DWORD dst_unused:UNUSED_PAD src0_sel:DWORD src1_sel:WORD_0
	v_lshlrev_b32_sdwa v5, v5, v37 dst_sel:DWORD dst_unused:UNUSED_PAD src0_sel:DWORD src1_sel:WORD_0
	v_mul_f16_sdwa v39, v38, v18 dst_sel:DWORD dst_unused:UNUSED_PAD src0_sel:DWORD src1_sel:WORD_1
	v_mul_f16_sdwa v52, v25, v18 dst_sel:DWORD dst_unused:UNUSED_PAD src0_sel:DWORD src1_sel:WORD_1
	;; [unrolled: 1-line block ×12, first 2 shown]
	v_fma_f16 v25, v25, v18, -v39
	v_fmac_f16_e32 v52, v38, v18
	v_fma_f16 v18, v48, v19, -v53
	v_fmac_f16_e32 v54, v8, v19
	;; [unrolled: 2-line block ×4, first 2 shown]
	v_fma_f16 v20, v49, v22, -v59
	v_fma_f16 v21, v45, v23, -v61
	v_fmac_f16_e32 v60, v46, v22
	v_fmac_f16_e32 v62, v43, v23
	v_add_f16_e32 v23, v25, v18
	v_add_f16_e32 v39, v52, v54
	;; [unrolled: 1-line block ×8, first 2 shown]
	v_sub_f16_e32 v31, v52, v54
	v_sub_f16_e32 v25, v25, v18
	v_fmac_f16_e32 v24, -0.5, v23
	v_fmac_f16_e32 v29, -0.5, v39
	v_add_f16_e32 v40, v41, v8
	v_add_f16_e32 v45, v44, v56
	v_sub_f16_e32 v43, v56, v58
	v_sub_f16_e32 v8, v8, v19
	v_add_f16_e32 v47, v33, v20
	v_sub_f16_e32 v49, v60, v62
	v_fmac_f16_e32 v41, -0.5, v42
	v_fmac_f16_e32 v44, -0.5, v46
	;; [unrolled: 1-line block ×3, first 2 shown]
	v_add_f16_e32 v52, v35, v60
	v_sub_f16_e32 v20, v20, v21
	v_add_f16_e32 v18, v22, v18
	v_add_f16_e32 v22, v38, v54
	v_fmac_f16_e32 v35, -0.5, v53
	v_fmamk_f16 v39, v31, 0x3aee, v24
	v_fmac_f16_e32 v24, 0xbaee, v31
	v_fmamk_f16 v31, v25, 0xbaee, v29
	v_fmac_f16_e32 v29, 0x3aee, v25
	v_add_f16_e32 v19, v40, v19
	v_add_f16_e32 v23, v45, v58
	v_fmamk_f16 v25, v43, 0x3aee, v41
	v_fmac_f16_e32 v41, 0xbaee, v43
	v_fmamk_f16 v40, v8, 0xbaee, v44
	v_fmac_f16_e32 v44, 0x3aee, v8
	;; [unrolled: 2-line block ×3, first 2 shown]
	v_add_f16_e32 v21, v47, v21
	v_add_f16_e32 v38, v52, v62
	v_fmamk_f16 v42, v20, 0xbaee, v35
	v_fmac_f16_e32 v35, 0x3aee, v20
	ds_write_b16 v27, v18
	ds_write_b16 v27, v39 offset:54
	ds_write_b16 v27, v24 offset:108
	ds_write_b16 v26, v19
	ds_write_b16 v26, v25 offset:54
	ds_write_b16 v26, v41 offset:108
	;; [unrolled: 3-line block ×3, first 2 shown]
	s_waitcnt lgkmcnt(0)
	s_barrier
	buffer_gl0_inv
	ds_read_u16 v33, v13
	ds_read_u16 v39, v13 offset:1458
	ds_read_u16 v41, v13 offset:1944
	ds_read_u16 v43, v17
	ds_read_u16 v45, v16
	ds_read_u16 v46, v13 offset:3888
	ds_read_u16 v47, v13 offset:3402
	;; [unrolled: 1-line block ×4, first 2 shown]
	s_waitcnt lgkmcnt(0)
	s_barrier
	buffer_gl0_inv
	ds_write_b16 v27, v22
	ds_write_b16 v27, v31 offset:54
	ds_write_b16 v27, v29 offset:108
	ds_write_b16 v26, v23
	ds_write_b16 v26, v40 offset:54
	ds_write_b16 v26, v44 offset:108
	;; [unrolled: 3-line block ×3, first 2 shown]
	s_waitcnt lgkmcnt(0)
	s_barrier
	buffer_gl0_inv
	s_clause 0x2
	global_load_dwordx2 v[18:19], v50, s[12:13] offset:312
	global_load_dwordx2 v[20:21], v51, s[12:13] offset:312
	;; [unrolled: 1-line block ×3, first 2 shown]
	v_mov_b32_e32 v5, 0xdb3
	v_mov_b32_e32 v26, 0x1e6
	v_mul_u32_u24_e32 v27, 0x1e6, v28
	v_lshlrev_b32_sdwa v28, v7, v34 dst_sel:DWORD dst_unused:UNUSED_PAD src0_sel:DWORD src1_sel:BYTE_0
	v_lshlrev_b32_sdwa v29, v7, v36 dst_sel:DWORD dst_unused:UNUSED_PAD src0_sel:DWORD src1_sel:WORD_0
	v_mul_u32_u24_sdwa v5, v11, v5 dst_sel:DWORD dst_unused:UNUSED_PAD src0_sel:WORD_0 src1_sel:DWORD
	v_lshrrev_b32_e32 v5, 16, v5
	v_sub_nc_u16 v6, v11, v5
	v_lshrrev_b16 v6, 1, v6
	v_add_nc_u16 v8, v6, v5
	v_lshlrev_b32_e32 v5, 1, v9
	v_mov_b32_e32 v6, 0
	v_lshrrev_b16 v8, 7, v8
	v_lshlrev_b64 v[24:25], 2, v[5:6]
	v_mul_u32_u24_sdwa v5, v32, v26 dst_sel:DWORD dst_unused:UNUSED_PAD src0_sel:WORD_0 src1_sel:DWORD
	v_mul_u32_u24_e32 v26, 0x1e6, v30
	v_lshlrev_b32_sdwa v30, v7, v37 dst_sel:DWORD dst_unused:UNUSED_PAD src0_sel:DWORD src1_sel:WORD_0
	ds_read_u16 v32, v13 offset:1458
	ds_read_u16 v34, v13 offset:1944
	;; [unrolled: 1-line block ×5, first 2 shown]
	ds_read_u16 v38, v16
	ds_read_u16 v40, v13 offset:2430
	v_mul_lo_u16 v8, 0xf3, v8
	v_add_co_u32 v7, s0, s12, v24
	v_add3_u32 v5, 0, v5, v28
	v_add3_u32 v24, 0, v26, v29
	v_sub_nc_u16 v31, v11, v8
	v_add_co_ci_u32_e64 v8, s0, s13, v25, s0
	v_add3_u32 v25, 0, v27, v30
	ds_read_u16 v27, v13
	ds_read_u16 v28, v17
	v_and_b32_e32 v26, 0xffff, v31
	s_waitcnt vmcnt(0) lgkmcnt(0)
	s_barrier
	buffer_gl0_inv
	v_mul_f16_sdwa v44, v34, v20 dst_sel:DWORD dst_unused:UNUSED_PAD src0_sel:DWORD src1_sel:WORD_1
	v_mul_f16_sdwa v29, v32, v18 dst_sel:DWORD dst_unused:UNUSED_PAD src0_sel:DWORD src1_sel:WORD_1
	v_mul_f16_sdwa v30, v39, v18 dst_sel:DWORD dst_unused:UNUSED_PAD src0_sel:DWORD src1_sel:WORD_1
	v_mul_f16_sdwa v31, v35, v19 dst_sel:DWORD dst_unused:UNUSED_PAD src0_sel:DWORD src1_sel:WORD_1
	v_mul_f16_sdwa v42, v48, v19 dst_sel:DWORD dst_unused:UNUSED_PAD src0_sel:DWORD src1_sel:WORD_1
	v_mul_f16_sdwa v50, v41, v20 dst_sel:DWORD dst_unused:UNUSED_PAD src0_sel:DWORD src1_sel:WORD_1
	v_mul_f16_sdwa v51, v36, v21 dst_sel:DWORD dst_unused:UNUSED_PAD src0_sel:DWORD src1_sel:WORD_1
	v_mul_f16_sdwa v52, v47, v21 dst_sel:DWORD dst_unused:UNUSED_PAD src0_sel:DWORD src1_sel:WORD_1
	v_mul_f16_sdwa v53, v40, v22 dst_sel:DWORD dst_unused:UNUSED_PAD src0_sel:DWORD src1_sel:WORD_1
	v_mul_f16_sdwa v54, v49, v22 dst_sel:DWORD dst_unused:UNUSED_PAD src0_sel:DWORD src1_sel:WORD_1
	v_mul_f16_sdwa v55, v37, v23 dst_sel:DWORD dst_unused:UNUSED_PAD src0_sel:DWORD src1_sel:WORD_1
	v_mul_f16_sdwa v56, v46, v23 dst_sel:DWORD dst_unused:UNUSED_PAD src0_sel:DWORD src1_sel:WORD_1
	v_fma_f16 v29, v39, v18, -v29
	v_fmac_f16_e32 v30, v32, v18
	v_fma_f16 v18, v48, v19, -v31
	v_fmac_f16_e32 v42, v35, v19
	;; [unrolled: 2-line block ×6, first 2 shown]
	v_add_f16_e32 v31, v29, v18
	v_sub_f16_e32 v32, v30, v42
	v_add_f16_e32 v34, v27, v30
	v_add_f16_e32 v30, v30, v42
	;; [unrolled: 1-line block ×7, first 2 shown]
	v_sub_f16_e32 v29, v29, v18
	v_fmac_f16_e32 v33, -0.5, v31
	v_fmac_f16_e32 v27, -0.5, v30
	v_add_f16_e32 v35, v45, v19
	v_add_f16_e32 v39, v38, v50
	v_sub_f16_e32 v37, v50, v52
	v_sub_f16_e32 v19, v19, v20
	v_add_f16_e32 v41, v43, v21
	v_fmac_f16_e32 v45, -0.5, v36
	v_fmac_f16_e32 v38, -0.5, v40
	v_sub_f16_e32 v46, v54, v56
	v_add_f16_e32 v47, v28, v54
	v_sub_f16_e32 v21, v21, v22
	v_add_f16_e32 v18, v23, v18
	v_add_f16_e32 v23, v34, v42
	v_fmac_f16_e32 v43, -0.5, v44
	v_fmac_f16_e32 v28, -0.5, v48
	v_fmamk_f16 v34, v32, 0x3aee, v33
	v_fmac_f16_e32 v33, 0xbaee, v32
	v_fmamk_f16 v32, v29, 0xbaee, v27
	v_fmac_f16_e32 v27, 0x3aee, v29
	v_add_f16_e32 v20, v35, v20
	v_add_f16_e32 v30, v39, v52
	;; [unrolled: 1-line block ×3, first 2 shown]
	v_fmamk_f16 v29, v37, 0x3aee, v45
	v_fmamk_f16 v35, v19, 0xbaee, v38
	v_add_f16_e32 v31, v47, v56
	v_fmac_f16_e32 v45, 0xbaee, v37
	v_fmac_f16_e32 v38, 0x3aee, v19
	v_fmamk_f16 v19, v46, 0x3aee, v43
	v_fmac_f16_e32 v43, 0xbaee, v46
	v_fmamk_f16 v36, v21, 0xbaee, v28
	v_fmac_f16_e32 v28, 0x3aee, v21
	ds_write_b16 v5, v18
	ds_write_b16 v5, v34 offset:162
	ds_write_b16 v5, v33 offset:324
	ds_write_b16 v24, v20
	ds_write_b16 v24, v29 offset:162
	ds_write_b16 v24, v45 offset:324
	;; [unrolled: 3-line block ×3, first 2 shown]
	s_waitcnt lgkmcnt(0)
	s_barrier
	buffer_gl0_inv
	ds_read_u16 v22, v13
	ds_read_u16 v29, v13 offset:1458
	ds_read_u16 v33, v13 offset:1944
	ds_read_u16 v34, v17
	ds_read_u16 v37, v16
	ds_read_u16 v39, v13 offset:3888
	ds_read_u16 v40, v13 offset:3402
	;; [unrolled: 1-line block ×4, first 2 shown]
	s_waitcnt lgkmcnt(0)
	s_barrier
	buffer_gl0_inv
	ds_write_b16 v5, v23
	ds_write_b16 v5, v32 offset:162
	ds_write_b16 v5, v27 offset:324
	ds_write_b16 v24, v30
	ds_write_b16 v24, v35 offset:162
	ds_write_b16 v24, v38 offset:324
	;; [unrolled: 3-line block ×3, first 2 shown]
	v_lshlrev_b32_e32 v5, 3, v26
	s_waitcnt lgkmcnt(0)
	s_barrier
	buffer_gl0_inv
	s_clause 0x1
	global_load_dwordx2 v[18:19], v[7:8], off offset:960
	global_load_dwordx2 v[20:21], v5, s[12:13] offset:960
	ds_read_u16 v5, v13 offset:1458
	ds_read_u16 v23, v13 offset:2916
	ds_read_u16 v24, v13 offset:1944
	ds_read_u16 v25, v13 offset:3402
	ds_read_u16 v27, v13 offset:3888
	ds_read_u16 v28, v13 offset:2430
	ds_read_u16 v30, v13
	ds_read_u16 v31, v16
	;; [unrolled: 1-line block ×3, first 2 shown]
	v_lshl_add_u32 v26, v26, 1, 0
	s_waitcnt vmcnt(0) lgkmcnt(0)
	s_barrier
	buffer_gl0_inv
	v_mul_f16_sdwa v35, v5, v18 dst_sel:DWORD dst_unused:UNUSED_PAD src0_sel:DWORD src1_sel:WORD_1
	v_mul_f16_sdwa v36, v29, v18 dst_sel:DWORD dst_unused:UNUSED_PAD src0_sel:DWORD src1_sel:WORD_1
	;; [unrolled: 1-line block ×11, first 2 shown]
	v_fma_f16 v29, v29, v18, -v35
	v_fmac_f16_e32 v36, v5, v18
	v_fma_f16 v5, v41, v19, -v38
	v_mul_f16_sdwa v51, v39, v21 dst_sel:DWORD dst_unused:UNUSED_PAD src0_sel:DWORD src1_sel:WORD_1
	v_fmac_f16_e32 v43, v23, v19
	v_fma_f16 v23, v33, v18, -v44
	v_fmac_f16_e32 v45, v24, v18
	v_fma_f16 v18, v40, v19, -v46
	;; [unrolled: 2-line block ×4, first 2 shown]
	v_add_f16_e32 v24, v29, v5
	v_fmac_f16_e32 v51, v27, v21
	v_add_f16_e32 v35, v23, v18
	v_add_f16_e32 v21, v22, v29
	v_add_f16_e32 v41, v19, v20
	v_add_f16_e32 v33, v37, v23
	v_sub_f16_e32 v25, v36, v43
	v_sub_f16_e32 v40, v23, v18
	v_add_f16_e32 v23, v34, v19
	v_fmac_f16_e32 v22, -0.5, v24
	v_add_f16_e32 v27, v30, v36
	v_add_f16_e32 v28, v36, v43
	v_sub_f16_e32 v36, v45, v47
	v_sub_f16_e32 v42, v49, v51
	v_fmac_f16_e32 v37, -0.5, v35
	v_fmac_f16_e32 v34, -0.5, v41
	v_sub_f16_e32 v29, v29, v5
	v_add_f16_e32 v5, v21, v5
	v_add_f16_e32 v18, v33, v18
	v_sub_f16_e32 v46, v19, v20
	v_add_f16_e32 v19, v23, v20
	v_fmamk_f16 v20, v25, 0x3aee, v22
	v_fmac_f16_e32 v22, 0xbaee, v25
	v_fmamk_f16 v21, v36, 0x3aee, v37
	v_fmamk_f16 v23, v42, 0x3aee, v34
	v_fmac_f16_e32 v37, 0xbaee, v36
	v_fmac_f16_e32 v34, 0xbaee, v42
	ds_write_b16 v13, v5
	ds_write_b16 v13, v18 offset:1458
	ds_write_b16 v13, v20 offset:486
	;; [unrolled: 1-line block ×8, first 2 shown]
	s_waitcnt lgkmcnt(0)
	s_barrier
	buffer_gl0_inv
	ds_read_u16 v21, v13
	ds_read_u16 v23, v13 offset:1458
	ds_read_u16 v18, v13 offset:1944
	ds_read_u16 v17, v17
	ds_read_u16 v16, v16
	ds_read_u16 v20, v13 offset:3888
	ds_read_u16 v19, v13 offset:3402
	;; [unrolled: 1-line block ×4, first 2 shown]
	v_add_f16_e32 v39, v45, v47
	v_add_f16_e32 v38, v31, v45
	;; [unrolled: 1-line block ×3, first 2 shown]
	v_fmac_f16_e32 v30, -0.5, v28
	v_add_f16_e32 v44, v32, v49
	v_fmac_f16_e32 v31, -0.5, v39
	v_add_f16_e32 v27, v27, v43
	v_fmac_f16_e32 v32, -0.5, v45
	v_fmamk_f16 v25, v29, 0xbaee, v30
	v_fmac_f16_e32 v30, 0x3aee, v29
	v_add_f16_e32 v28, v38, v47
	v_fmamk_f16 v29, v40, 0xbaee, v31
	v_fmac_f16_e32 v31, 0x3aee, v40
	v_add_f16_e32 v5, v44, v51
	v_fmamk_f16 v33, v46, 0xbaee, v32
	v_fmac_f16_e32 v32, 0x3aee, v46
	s_waitcnt lgkmcnt(0)
	s_barrier
	buffer_gl0_inv
	ds_write_b16 v13, v27
	ds_write_b16 v13, v25 offset:486
	ds_write_b16 v13, v30 offset:972
	;; [unrolled: 1-line block ×8, first 2 shown]
	s_waitcnt lgkmcnt(0)
	s_barrier
	buffer_gl0_inv
	s_and_saveexec_b32 s0, vcc_lo
	s_cbranch_execz .LBB0_15
; %bb.14:
	v_lshlrev_b32_e32 v5, 1, v11
	v_add_co_u32 v7, vcc_lo, 0x800, v7
	v_add_co_ci_u32_e32 v8, vcc_lo, 0, v8, vcc_lo
	v_lshlrev_b64 v[25:26], 2, v[5:6]
	v_lshlrev_b32_e32 v5, 1, v10
	v_mul_hi_u32 v27, 0x59e60383, v9
	global_load_dwordx2 v[7:8], v[7:8], off offset:856
	v_add_nc_u32_e32 v28, 0xf3, v9
	v_sub_nc_u32_e32 v14, 0, v14
	v_add_co_u32 v11, vcc_lo, s12, v25
	v_add_co_ci_u32_e32 v25, vcc_lo, s13, v26, vcc_lo
	v_lshlrev_b64 v[5:6], 2, v[5:6]
	v_add_co_u32 v10, vcc_lo, 0x800, v11
	v_add_co_ci_u32_e32 v11, vcc_lo, 0, v25, vcc_lo
	v_add_nc_u32_e32 v29, 0x1e6, v9
	v_add_co_u32 v5, vcc_lo, s12, v5
	global_load_dwordx2 v[10:11], v[10:11], off offset:856
	v_add_co_ci_u32_e32 v6, vcc_lo, s13, v6, vcc_lo
	v_add_co_u32 v5, vcc_lo, 0x800, v5
	v_mul_lo_u32 v25, s5, v3
	v_add_co_ci_u32_e32 v6, vcc_lo, 0, v6, vcc_lo
	v_mul_lo_u32 v26, s4, v4
	v_mad_u64_u32 v[3:4], null, s4, v3, 0
	global_load_dwordx2 v[5:6], v[5:6], off offset:856
	v_sub_nc_u32_e32 v15, 0, v15
	ds_read_u16 v42, v13 offset:3888
	ds_read_u16 v43, v13 offset:3402
	;; [unrolled: 1-line block ×6, first 2 shown]
	ds_read_u16 v48, v13
	v_mul_hi_u32 v13, 0x59e60383, v28
	v_add_nc_u32_e32 v12, v12, v14
	v_mul_hi_u32 v14, 0x59e60383, v29
	v_lshrrev_b32_e32 v27, 8, v27
	v_add_nc_u32_e32 v0, v0, v15
	v_add3_u32 v4, v4, v26, v25
	ds_read_u16 v49, v12
	v_lshlrev_b64 v[1:2], 2, v[1:2]
	v_lshrrev_b32_e32 v13, 8, v13
	ds_read_u16 v50, v0
	v_mul_u32_u24_e32 v12, 0x2d9, v27
	v_lshrrev_b32_e32 v14, 8, v14
	v_lshlrev_b64 v[3:4], 2, v[3:4]
	v_mul_u32_u24_e32 v0, 0x2d9, v13
	v_sub_nc_u32_e32 v9, v9, v12
	v_mul_u32_u24_e32 v12, 0x2d9, v14
	v_add_co_u32 v15, vcc_lo, s10, v3
	v_add_co_ci_u32_e32 v25, vcc_lo, s11, v4, vcc_lo
	v_mad_u64_u32 v[3:4], null, s2, v9, 0
	v_add_nc_u32_e32 v38, 0x5b2, v9
	v_sub_nc_u32_e32 v26, v28, v0
	v_sub_nc_u32_e32 v27, v29, v12
	v_add_nc_u32_e32 v36, 0x2d9, v9
	v_add_co_u32 v51, vcc_lo, v15, v1
	v_mad_u32_u24 v39, 0x88b, v13, v26
	v_mad_u64_u32 v[12:13], null, s2, v38, 0
	v_mad_u32_u24 v40, 0x88b, v14, v27
	v_add_co_ci_u32_e32 v52, vcc_lo, v25, v2, vcc_lo
	v_mov_b32_e32 v2, v4
	v_mad_u64_u32 v[0:1], null, s2, v36, 0
	v_mad_u64_u32 v[14:15], null, s2, v39, 0
	;; [unrolled: 1-line block ×3, first 2 shown]
	v_add_nc_u32_e32 v41, 0x2d9, v39
	v_mad_u64_u32 v[27:28], null, s3, v9, v[2:3]
	v_mov_b32_e32 v2, v13
	v_add_nc_u32_e32 v53, 0x5b2, v39
	v_add_nc_u32_e32 v54, 0x2d9, v40
	;; [unrolled: 1-line block ×3, first 2 shown]
	v_mad_u64_u32 v[28:29], null, s2, v41, 0
	v_mad_u64_u32 v[36:37], null, s3, v36, v[1:2]
	;; [unrolled: 1-line block ×3, first 2 shown]
	v_mov_b32_e32 v1, v15
	v_mad_u64_u32 v[37:38], null, s3, v38, v[2:3]
	v_mov_b32_e32 v2, v26
	v_mad_u64_u32 v[32:33], null, s2, v54, 0
	v_mad_u64_u32 v[34:35], null, s2, v55, 0
	v_mov_b32_e32 v4, v27
	v_mad_u64_u32 v[26:27], null, s3, v39, v[1:2]
	v_mov_b32_e32 v9, v29
	v_mov_b32_e32 v1, v36
	;; [unrolled: 1-line block ×3, first 2 shown]
	v_mad_u64_u32 v[38:39], null, s3, v40, v[2:3]
	v_lshlrev_b64 v[3:4], 2, v[3:4]
	v_mov_b32_e32 v2, v33
	v_mov_b32_e32 v13, v37
	;; [unrolled: 1-line block ×3, first 2 shown]
	v_lshlrev_b64 v[0:1], 2, v[0:1]
	v_mad_u64_u32 v[39:40], null, s3, v54, v[2:3]
	v_lshlrev_b64 v[12:13], 2, v[12:13]
	v_add_co_u32 v2, vcc_lo, v51, v3
	v_add_co_ci_u32_e32 v3, vcc_lo, v52, v4, vcc_lo
	v_add_co_u32 v0, vcc_lo, v51, v0
	v_add_co_ci_u32_e32 v1, vcc_lo, v52, v1, vcc_lo
	;; [unrolled: 2-line block ×3, first 2 shown]
	v_mov_b32_e32 v33, v39
	s_waitcnt vmcnt(2) lgkmcnt(3)
	v_mul_f16_sdwa v4, v47, v7 dst_sel:DWORD dst_unused:UNUSED_PAD src0_sel:DWORD src1_sel:WORD_1
	v_fma_f16 v4, v23, v7, -v4
	s_waitcnt vmcnt(1)
	v_mad_u64_u32 v[35:36], null, s3, v41, v[9:10]
	v_mad_u64_u32 v[36:37], null, s3, v53, v[15:16]
	v_mov_b32_e32 v15, v26
	v_mov_b32_e32 v26, v38
	v_mad_u64_u32 v[40:41], null, s3, v55, v[27:28]
	v_mov_b32_e32 v29, v35
	v_lshlrev_b64 v[14:15], 2, v[14:15]
	v_lshlrev_b64 v[25:26], 2, v[25:26]
	v_mov_b32_e32 v31, v36
	v_mul_f16_sdwa v9, v44, v8 dst_sel:DWORD dst_unused:UNUSED_PAD src0_sel:DWORD src1_sel:WORD_1
	v_lshlrev_b64 v[27:28], 2, v[28:29]
	v_mov_b32_e32 v35, v40
	v_add_co_u32 v14, vcc_lo, v51, v14
	v_add_co_ci_u32_e32 v15, vcc_lo, v52, v15, vcc_lo
	v_lshlrev_b64 v[29:30], 2, v[30:31]
	v_add_co_u32 v25, vcc_lo, v51, v25
	v_add_co_ci_u32_e32 v26, vcc_lo, v52, v26, vcc_lo
	v_lshlrev_b64 v[31:32], 2, v[32:33]
	v_add_co_u32 v27, vcc_lo, v51, v27
	v_lshlrev_b64 v[33:34], 2, v[34:35]
	v_mul_f16_sdwa v35, v23, v7 dst_sel:DWORD dst_unused:UNUSED_PAD src0_sel:DWORD src1_sel:WORD_1
	v_mul_f16_sdwa v36, v24, v8 dst_sel:DWORD dst_unused:UNUSED_PAD src0_sel:DWORD src1_sel:WORD_1
	v_add_co_ci_u32_e32 v28, vcc_lo, v52, v28, vcc_lo
	v_add_co_u32 v29, vcc_lo, v51, v29
	v_add_co_ci_u32_e32 v30, vcc_lo, v52, v30, vcc_lo
	v_add_co_u32 v31, vcc_lo, v51, v31
	v_fma_f16 v9, v24, v8, -v9
	v_fmac_f16_e32 v35, v7, v47
	v_fmac_f16_e32 v36, v8, v44
	v_add_co_ci_u32_e32 v32, vcc_lo, v52, v32, vcc_lo
	v_add_co_u32 v7, vcc_lo, v51, v33
	v_add_co_ci_u32_e32 v8, vcc_lo, v52, v34, vcc_lo
	v_sub_f16_e32 v23, v4, v9
	v_add_f16_e32 v24, v35, v36
	s_waitcnt lgkmcnt(2)
	v_add_f16_e32 v33, v35, v48
	v_add_f16_e32 v34, v4, v9
	v_add_f16_e32 v4, v21, v4
	v_sub_f16_e32 v35, v35, v36
	v_fma_f16 v24, -0.5, v24, v48
	v_add_f16_e32 v33, v36, v33
	v_fma_f16 v21, -0.5, v34, v21
	v_add_f16_e32 v4, v4, v9
	v_mul_f16_sdwa v9, v45, v10 dst_sel:DWORD dst_unused:UNUSED_PAD src0_sel:DWORD src1_sel:WORD_1
	v_mul_f16_sdwa v34, v42, v11 dst_sel:DWORD dst_unused:UNUSED_PAD src0_sel:DWORD src1_sel:WORD_1
	;; [unrolled: 1-line block ×4, first 2 shown]
	v_fmamk_f16 v38, v23, 0x3aee, v24
	v_fmac_f16_e32 v24, 0xbaee, v23
	v_fmamk_f16 v23, v35, 0xbaee, v21
	v_fmac_f16_e32 v21, 0x3aee, v35
	v_pack_b32_f16 v4, v4, v33
	v_fma_f16 v9, v22, v10, -v9
	v_fma_f16 v20, v20, v11, -v34
	v_fmac_f16_e32 v36, v10, v45
	v_fmac_f16_e32 v37, v11, v42
	s_waitcnt vmcnt(0)
	v_mul_f16_sdwa v10, v46, v5 dst_sel:DWORD dst_unused:UNUSED_PAD src0_sel:DWORD src1_sel:WORD_1
	v_mul_f16_sdwa v11, v43, v6 dst_sel:DWORD dst_unused:UNUSED_PAD src0_sel:DWORD src1_sel:WORD_1
	;; [unrolled: 1-line block ×4, first 2 shown]
	global_store_dword v[2:3], v4, off
	v_pack_b32_f16 v2, v21, v24
	v_add_f16_e32 v21, v36, v37
	v_fma_f16 v10, v18, v5, -v10
	v_fma_f16 v11, v19, v6, -v11
	v_fmac_f16_e32 v22, v5, v46
	v_fmac_f16_e32 v33, v6, v43
	v_pack_b32_f16 v3, v23, v38
	v_sub_f16_e32 v4, v9, v20
	v_add_f16_e32 v24, v9, v20
	v_add_f16_e32 v9, v17, v9
	global_store_dword v[0:1], v2, off
	global_store_dword v[12:13], v3, off
	s_waitcnt lgkmcnt(1)
	v_fma_f16 v0, -0.5, v21, v49
	v_add_f16_e32 v6, v22, v33
	v_add_f16_e32 v12, v10, v11
	;; [unrolled: 1-line block ×4, first 2 shown]
	v_sub_f16_e32 v5, v10, v11
	s_waitcnt lgkmcnt(0)
	v_add_f16_e32 v9, v22, v50
	v_add_f16_e32 v10, v16, v10
	v_fma_f16 v2, -0.5, v24, v17
	v_sub_f16_e32 v13, v22, v33
	v_fmamk_f16 v17, v4, 0x3aee, v0
	v_fma_f16 v6, -0.5, v6, v50
	v_fmac_f16_e32 v0, 0xbaee, v4
	v_fma_f16 v4, -0.5, v12, v16
	v_sub_f16_e32 v34, v36, v37
	v_add_f16_e32 v1, v37, v23
	v_add_f16_e32 v9, v33, v9
	;; [unrolled: 1-line block ×3, first 2 shown]
	v_fmamk_f16 v11, v5, 0x3aee, v6
	v_fmac_f16_e32 v6, 0xbaee, v5
	v_fmamk_f16 v5, v13, 0xbaee, v4
	v_fmac_f16_e32 v4, 0x3aee, v13
	;; [unrolled: 2-line block ×3, first 2 shown]
	v_pack_b32_f16 v1, v3, v1
	v_pack_b32_f16 v3, v10, v9
	;; [unrolled: 1-line block ×6, first 2 shown]
	global_store_dword v[14:15], v3, off
	global_store_dword v[27:28], v4, off
	;; [unrolled: 1-line block ×6, first 2 shown]
.LBB0_15:
	s_endpgm
	.section	.rodata,"a",@progbits
	.p2align	6, 0x0
	.amdhsa_kernel fft_rtc_fwd_len2187_factors_3_3_3_3_3_3_3_wgs_243_tpt_243_halfLds_half_op_CI_CI_sbrr_dirReg
		.amdhsa_group_segment_fixed_size 0
		.amdhsa_private_segment_fixed_size 0
		.amdhsa_kernarg_size 104
		.amdhsa_user_sgpr_count 6
		.amdhsa_user_sgpr_private_segment_buffer 1
		.amdhsa_user_sgpr_dispatch_ptr 0
		.amdhsa_user_sgpr_queue_ptr 0
		.amdhsa_user_sgpr_kernarg_segment_ptr 1
		.amdhsa_user_sgpr_dispatch_id 0
		.amdhsa_user_sgpr_flat_scratch_init 0
		.amdhsa_user_sgpr_private_segment_size 0
		.amdhsa_wavefront_size32 1
		.amdhsa_uses_dynamic_stack 0
		.amdhsa_system_sgpr_private_segment_wavefront_offset 0
		.amdhsa_system_sgpr_workgroup_id_x 1
		.amdhsa_system_sgpr_workgroup_id_y 0
		.amdhsa_system_sgpr_workgroup_id_z 0
		.amdhsa_system_sgpr_workgroup_info 0
		.amdhsa_system_vgpr_workitem_id 0
		.amdhsa_next_free_vgpr 64
		.amdhsa_next_free_sgpr 31
		.amdhsa_reserve_vcc 1
		.amdhsa_reserve_flat_scratch 0
		.amdhsa_float_round_mode_32 0
		.amdhsa_float_round_mode_16_64 0
		.amdhsa_float_denorm_mode_32 3
		.amdhsa_float_denorm_mode_16_64 3
		.amdhsa_dx10_clamp 1
		.amdhsa_ieee_mode 1
		.amdhsa_fp16_overflow 0
		.amdhsa_workgroup_processor_mode 1
		.amdhsa_memory_ordered 1
		.amdhsa_forward_progress 0
		.amdhsa_shared_vgpr_count 0
		.amdhsa_exception_fp_ieee_invalid_op 0
		.amdhsa_exception_fp_denorm_src 0
		.amdhsa_exception_fp_ieee_div_zero 0
		.amdhsa_exception_fp_ieee_overflow 0
		.amdhsa_exception_fp_ieee_underflow 0
		.amdhsa_exception_fp_ieee_inexact 0
		.amdhsa_exception_int_div_zero 0
	.end_amdhsa_kernel
	.text
.Lfunc_end0:
	.size	fft_rtc_fwd_len2187_factors_3_3_3_3_3_3_3_wgs_243_tpt_243_halfLds_half_op_CI_CI_sbrr_dirReg, .Lfunc_end0-fft_rtc_fwd_len2187_factors_3_3_3_3_3_3_3_wgs_243_tpt_243_halfLds_half_op_CI_CI_sbrr_dirReg
                                        ; -- End function
	.section	.AMDGPU.csdata,"",@progbits
; Kernel info:
; codeLenInByte = 8760
; NumSgprs: 33
; NumVgprs: 64
; ScratchSize: 0
; MemoryBound: 0
; FloatMode: 240
; IeeeMode: 1
; LDSByteSize: 0 bytes/workgroup (compile time only)
; SGPRBlocks: 4
; VGPRBlocks: 7
; NumSGPRsForWavesPerEU: 33
; NumVGPRsForWavesPerEU: 64
; Occupancy: 16
; WaveLimiterHint : 1
; COMPUTE_PGM_RSRC2:SCRATCH_EN: 0
; COMPUTE_PGM_RSRC2:USER_SGPR: 6
; COMPUTE_PGM_RSRC2:TRAP_HANDLER: 0
; COMPUTE_PGM_RSRC2:TGID_X_EN: 1
; COMPUTE_PGM_RSRC2:TGID_Y_EN: 0
; COMPUTE_PGM_RSRC2:TGID_Z_EN: 0
; COMPUTE_PGM_RSRC2:TIDIG_COMP_CNT: 0
	.text
	.p2alignl 6, 3214868480
	.fill 48, 4, 3214868480
	.type	__hip_cuid_1720aa5eddc1b04e,@object ; @__hip_cuid_1720aa5eddc1b04e
	.section	.bss,"aw",@nobits
	.globl	__hip_cuid_1720aa5eddc1b04e
__hip_cuid_1720aa5eddc1b04e:
	.byte	0                               ; 0x0
	.size	__hip_cuid_1720aa5eddc1b04e, 1

	.ident	"AMD clang version 19.0.0git (https://github.com/RadeonOpenCompute/llvm-project roc-6.4.0 25133 c7fe45cf4b819c5991fe208aaa96edf142730f1d)"
	.section	".note.GNU-stack","",@progbits
	.addrsig
	.addrsig_sym __hip_cuid_1720aa5eddc1b04e
	.amdgpu_metadata
---
amdhsa.kernels:
  - .args:
      - .actual_access:  read_only
        .address_space:  global
        .offset:         0
        .size:           8
        .value_kind:     global_buffer
      - .offset:         8
        .size:           8
        .value_kind:     by_value
      - .actual_access:  read_only
        .address_space:  global
        .offset:         16
        .size:           8
        .value_kind:     global_buffer
      - .actual_access:  read_only
        .address_space:  global
        .offset:         24
        .size:           8
        .value_kind:     global_buffer
      - .actual_access:  read_only
        .address_space:  global
        .offset:         32
        .size:           8
        .value_kind:     global_buffer
      - .offset:         40
        .size:           8
        .value_kind:     by_value
      - .actual_access:  read_only
        .address_space:  global
        .offset:         48
        .size:           8
        .value_kind:     global_buffer
      - .actual_access:  read_only
        .address_space:  global
        .offset:         56
        .size:           8
        .value_kind:     global_buffer
      - .offset:         64
        .size:           4
        .value_kind:     by_value
      - .actual_access:  read_only
        .address_space:  global
        .offset:         72
        .size:           8
        .value_kind:     global_buffer
      - .actual_access:  read_only
        .address_space:  global
        .offset:         80
        .size:           8
        .value_kind:     global_buffer
      - .actual_access:  read_only
        .address_space:  global
        .offset:         88
        .size:           8
        .value_kind:     global_buffer
      - .actual_access:  write_only
        .address_space:  global
        .offset:         96
        .size:           8
        .value_kind:     global_buffer
    .group_segment_fixed_size: 0
    .kernarg_segment_align: 8
    .kernarg_segment_size: 104
    .language:       OpenCL C
    .language_version:
      - 2
      - 0
    .max_flat_workgroup_size: 243
    .name:           fft_rtc_fwd_len2187_factors_3_3_3_3_3_3_3_wgs_243_tpt_243_halfLds_half_op_CI_CI_sbrr_dirReg
    .private_segment_fixed_size: 0
    .sgpr_count:     33
    .sgpr_spill_count: 0
    .symbol:         fft_rtc_fwd_len2187_factors_3_3_3_3_3_3_3_wgs_243_tpt_243_halfLds_half_op_CI_CI_sbrr_dirReg.kd
    .uniform_work_group_size: 1
    .uses_dynamic_stack: false
    .vgpr_count:     64
    .vgpr_spill_count: 0
    .wavefront_size: 32
    .workgroup_processor_mode: 1
amdhsa.target:   amdgcn-amd-amdhsa--gfx1030
amdhsa.version:
  - 1
  - 2
...

	.end_amdgpu_metadata
